;; amdgpu-corpus repo=ROCm/rocFFT kind=compiled arch=gfx906 opt=O3
	.text
	.amdgcn_target "amdgcn-amd-amdhsa--gfx906"
	.amdhsa_code_object_version 6
	.protected	fft_rtc_back_len49_factors_7_7_wgs_196_tpt_7_dp_op_CI_CI_sbrc_z_xy_diag_dirReg ; -- Begin function fft_rtc_back_len49_factors_7_7_wgs_196_tpt_7_dp_op_CI_CI_sbrc_z_xy_diag_dirReg
	.globl	fft_rtc_back_len49_factors_7_7_wgs_196_tpt_7_dp_op_CI_CI_sbrc_z_xy_diag_dirReg
	.p2align	8
	.type	fft_rtc_back_len49_factors_7_7_wgs_196_tpt_7_dp_op_CI_CI_sbrc_z_xy_diag_dirReg,@function
fft_rtc_back_len49_factors_7_7_wgs_196_tpt_7_dp_op_CI_CI_sbrc_z_xy_diag_dirReg: ; @fft_rtc_back_len49_factors_7_7_wgs_196_tpt_7_dp_op_CI_CI_sbrc_z_xy_diag_dirReg
; %bb.0:
	s_load_dwordx8 s[8:15], s[4:5], 0x0
	v_mul_u32_u24_e32 v2, 0x53a, v0
	v_lshrrev_b32_e32 v42, 16, v2
	s_mov_b32 s30, 0x37e14327
	s_mov_b32 s31, 0x3fe948f6
	s_waitcnt lgkmcnt(0)
	s_load_dwordx4 s[0:3], s[12:13], 0x8
	s_mov_b32 s13, 0
	s_mov_b32 s28, 0xb247c609
	;; [unrolled: 1-line block ×4, first 2 shown]
	s_waitcnt lgkmcnt(0)
	s_add_i32 s0, s0, -1
	s_lshr_b32 s0, s0, 2
	s_mul_hi_u32 s0, s0, 0x24924925
	s_add_i32 s0, s0, 1
	s_mul_i32 s7, s0, s2
	v_cvt_f32_u32_e32 v1, s7
	s_load_dwordx4 s[0:3], s[4:5], 0x58
	s_load_dwordx2 s[20:21], s[4:5], 0x20
	s_sub_i32 s4, 0, s7
	s_load_dwordx4 s[16:19], s[14:15], 0x0
	s_load_dword s12, s[14:15], 0x10
	v_rcp_iflag_f32_e32 v1, v1
                                        ; kill: killed $sgpr20 killed $sgpr21
	s_mov_b32 s27, 0x3fd5d0dc
	s_mov_b32 s26, s28
	v_mul_f32_e32 v1, 0x4f7ffffe, v1
	v_cvt_u32_f32_e32 v1, v1
	v_readfirstlane_b32 s5, v1
	s_mul_i32 s4, s4, s5
	s_mul_hi_u32 s4, s5, s4
	s_add_i32 s5, s5, s4
	s_mul_hi_u32 s4, s6, s5
	s_mul_i32 s5, s4, s7
	s_sub_i32 s5, s6, s5
	s_waitcnt lgkmcnt(0)
	s_add_i32 s19, s4, 1
	s_sub_i32 s22, s5, s7
	s_cmp_ge_u32 s5, s7
	s_cselect_b32 s4, s19, s4
	s_cselect_b32 s5, s22, s5
	s_add_i32 s19, s4, 1
	s_cmp_ge_u32 s5, s7
	s_cselect_b32 s33, s19, s4
	s_mul_i32 s7, s33, s7
	s_sub_i32 s6, s6, s7
	s_mul_hi_u32 s7, s6, 0x24924925
	s_lshl_b64 s[4:5], s[10:11], 3
	s_sub_i32 s10, s6, s7
	s_lshr_b32 s10, s10, 1
	s_add_i32 s10, s10, s7
	s_lshr_b32 s7, s10, 2
	s_mul_i32 s10, s7, 7
	s_sub_i32 s35, s6, s10
	s_add_i32 s7, s7, s35
	s_mul_hi_u32 s6, s7, 0x5397829d
	s_lshr_b32 s6, s6, 4
	s_mul_i32 s6, s6, 49
	s_mul_i32 s35, s35, 28
	s_sub_i32 s34, s7, s6
	s_mul_i32 s10, s35, s18
	s_mul_i32 s6, s34, s12
	s_add_i32 s12, s6, s10
	s_add_u32 s6, s14, s4
	s_addc_u32 s7, s15, s5
	s_load_dwordx2 s[6:7], s[6:7], 0x0
	v_mul_lo_u16_e32 v1, 49, v42
	v_sub_u16_e32 v43, v0, v1
	v_mad_u64_u32 v[3:4], s[10:11], s16, v43, 0
	s_waitcnt lgkmcnt(0)
	s_mul_i32 s7, s7, s33
	s_mul_hi_u32 s10, s6, s33
	s_add_i32 s7, s10, s7
	s_add_u32 s4, s20, s4
	s_addc_u32 s5, s21, s5
	s_load_dwordx2 s[10:11], s[4:5], 0x0
	v_mov_b32_e32 v1, v4
	v_mad_u64_u32 v[1:2], s[4:5], s17, v43, v[1:2]
	s_mul_i32 s6, s6, s33
	s_waitcnt lgkmcnt(0)
	s_mul_i32 s4, s11, s33
	s_mul_hi_u32 s5, s10, s33
	s_add_i32 s11, s5, s4
	s_lshl_b64 s[4:5], s[6:7], 4
	s_add_u32 s4, s0, s4
	v_mov_b32_e32 v4, v1
	v_mul_lo_u32 v1, s18, v42
	s_addc_u32 s5, s1, s5
	s_lshl_b64 s[0:1], s[12:13], 4
	s_add_u32 s0, s4, s0
	v_lshlrev_b64 v[3:4], 4, v[3:4]
	s_addc_u32 s1, s5, s1
	v_mov_b32_e32 v2, 0
	v_mov_b32_e32 v5, s1
	v_add_co_u32_e32 v18, vcc, s0, v3
	v_addc_co_u32_e32 v19, vcc, v5, v4, vcc
	v_lshlrev_b64 v[3:4], 4, v[1:2]
	s_lshl_b32 s0, s18, 2
	v_add_co_u32_e32 v12, vcc, v18, v3
	v_add_u32_e32 v1, s0, v1
	v_addc_co_u32_e32 v13, vcc, v19, v4, vcc
	v_lshlrev_b64 v[3:4], 4, v[1:2]
	v_add_u32_e32 v1, s0, v1
	v_lshlrev_b64 v[5:6], 4, v[1:2]
	v_add_co_u32_e32 v14, vcc, v18, v3
	v_add_u32_e32 v1, s0, v1
	v_addc_co_u32_e32 v15, vcc, v19, v4, vcc
	v_lshlrev_b64 v[16:17], 4, v[1:2]
	v_add_co_u32_e32 v32, vcc, v18, v5
	v_add_u32_e32 v1, s0, v1
	v_addc_co_u32_e32 v33, vcc, v19, v6, vcc
	global_load_dwordx4 v[4:7], v[12:13], off
	global_load_dwordx4 v[8:11], v[14:15], off
	v_lshlrev_b64 v[12:13], 4, v[1:2]
	v_add_co_u32_e32 v34, vcc, v18, v16
	v_addc_co_u32_e32 v35, vcc, v19, v17, vcc
	v_add_u32_e32 v1, s0, v1
	v_add_co_u32_e32 v36, vcc, v18, v12
	v_addc_co_u32_e32 v37, vcc, v19, v13, vcc
	v_lshlrev_b64 v[12:13], 4, v[1:2]
	v_add_u32_e32 v1, s0, v1
	v_add_co_u32_e32 v38, vcc, v18, v12
	v_addc_co_u32_e32 v39, vcc, v19, v13, vcc
	v_lshlrev_b64 v[12:13], 4, v[1:2]
	v_mul_u32_u24_e32 v1, 0x925, v0
	v_add_co_u32_e32 v40, vcc, v18, v12
	v_addc_co_u32_e32 v41, vcc, v19, v13, vcc
	global_load_dwordx4 v[12:15], v[32:33], off
	global_load_dwordx4 v[16:19], v[34:35], off
	;; [unrolled: 1-line block ×5, first 2 shown]
	v_lshrrev_b32_e32 v60, 16, v1
	v_mul_lo_u16_e32 v1, 28, v60
	v_sub_u16_e32 v1, v0, v1
	v_mul_lo_u16_e32 v33, 28, v43
	v_lshlrev_b32_e32 v32, 4, v42
	v_mul_u32_u24_e32 v3, 0x1c0, v60
	v_lshlrev_b32_e32 v34, 4, v1
	v_lshlrev_b32_e32 v33, 4, v33
	s_load_dwordx4 s[4:7], s[20:21], 0x0
	v_add3_u32 v3, 0, v3, v34
	v_add3_u32 v34, 0, v33, v32
	s_waitcnt lgkmcnt(0)
	s_load_dword s7, s[20:21], 0x10
	v_add3_u32 v32, 0, v32, v33
	s_mov_b32 s22, 0xe976ee23
	s_mov_b32 s23, 0x3fe11646
	;; [unrolled: 1-line block ×13, first 2 shown]
	s_movk_i32 s12, 0xa80
	v_add_co_u32_e32 v1, vcc, s35, v1
	s_mul_i32 s10, s10, s33
	v_mul_u32_u24_e32 v0, 0x14f, v0
	s_waitcnt vmcnt(6)
	ds_write_b128 v34, v[4:7]
	s_waitcnt vmcnt(5)
	ds_write_b128 v32, v[8:11] offset:64
	s_waitcnt vmcnt(4)
	ds_write_b128 v32, v[12:15] offset:128
	;; [unrolled: 2-line block ×6, first 2 shown]
	s_waitcnt lgkmcnt(0)
	s_barrier
	ds_read_b128 v[4:7], v3 offset:3136
	ds_read_b128 v[8:11], v3 offset:18816
	;; [unrolled: 1-line block ×6, first 2 shown]
	ds_read_b128 v[28:31], v3
	s_waitcnt lgkmcnt(5)
	v_add_f64 v[32:33], v[4:5], v[8:9]
	v_add_f64 v[34:35], v[6:7], v[10:11]
	s_waitcnt lgkmcnt(2)
	v_add_f64 v[36:37], v[12:13], v[20:21]
	v_add_f64 v[38:39], v[14:15], v[22:23]
	;; [unrolled: 3-line block ×3, first 2 shown]
	v_add_f64 v[48:49], v[4:5], -v[8:9]
	v_add_f64 v[8:9], v[12:13], -v[20:21]
	;; [unrolled: 1-line block ×4, first 2 shown]
	v_add_f64 v[44:45], v[36:37], v[32:33]
	v_add_f64 v[46:47], v[38:39], v[34:35]
	v_add_f64 v[10:11], v[14:15], -v[22:23]
	v_add_f64 v[14:15], v[26:27], -v[18:19]
	;; [unrolled: 1-line block ×6, first 2 shown]
	v_add_f64 v[16:17], v[40:41], v[44:45]
	v_add_f64 v[18:19], v[42:43], v[46:47]
	v_add_f64 v[36:37], v[12:13], v[8:9]
	v_add_f64 v[44:45], v[10:11], -v[50:51]
	v_add_f64 v[32:33], v[32:33], -v[40:41]
	;; [unrolled: 1-line block ×3, first 2 shown]
	v_add_f64 v[38:39], v[14:15], v[10:11]
	v_mul_f64 v[46:47], v[26:27], s[0:1]
	s_waitcnt lgkmcnt(0)
	v_add_f64 v[4:5], v[28:29], v[16:17]
	v_add_f64 v[28:29], v[12:13], -v[8:9]
	v_add_f64 v[6:7], v[30:31], v[18:19]
	v_add_f64 v[30:31], v[8:9], -v[48:49]
	v_add_f64 v[8:9], v[14:15], -v[10:11]
	v_mul_f64 v[10:11], v[22:23], s[0:1]
	v_mul_f64 v[32:33], v[32:33], s[30:31]
	;; [unrolled: 1-line block ×3, first 2 shown]
	v_add_f64 v[12:13], v[48:49], -v[12:13]
	v_mul_f64 v[28:29], v[28:29], s[22:23]
	v_add_f64 v[14:15], v[50:51], -v[14:15]
	v_mul_f64 v[40:41], v[44:45], s[14:15]
	v_mul_f64 v[52:53], v[8:9], s[22:23]
	v_add_f64 v[36:37], v[36:37], v[48:49]
	v_add_f64 v[38:39], v[38:39], v[50:51]
	v_fma_f64 v[16:17], v[16:17], s[20:21], v[4:5]
	v_fma_f64 v[18:19], v[18:19], s[20:21], v[6:7]
	v_fma_f64 v[54:55], v[30:31], s[14:15], -v[28:29]
	v_mul_f64 v[30:31], v[30:31], s[14:15]
	v_fma_f64 v[8:9], v[20:21], s[16:17], -v[10:11]
	v_fma_f64 v[10:11], v[24:25], s[16:17], -v[46:47]
	;; [unrolled: 1-line block ×5, first 2 shown]
	v_fma_f64 v[22:23], v[22:23], s[0:1], v[32:33]
	v_fma_f64 v[26:27], v[26:27], s[0:1], v[34:35]
	v_fma_f64 v[30:31], v[12:13], s[26:27], -v[30:31]
	v_fma_f64 v[14:15], v[14:15], s[28:29], v[52:53]
	v_fma_f64 v[12:13], v[12:13], s[28:29], v[28:29]
	v_fma_f64 v[20:21], v[20:21], s[24:25], -v[32:33]
	v_fma_f64 v[46:47], v[38:39], s[18:19], v[46:47]
	v_fma_f64 v[54:55], v[36:37], s[18:19], v[54:55]
	v_add_f64 v[24:25], v[24:25], v[18:19]
	v_fma_f64 v[28:29], v[38:39], s[18:19], v[40:41]
	v_fma_f64 v[30:31], v[36:37], s[18:19], v[30:31]
	v_add_f64 v[32:33], v[22:23], v[16:17]
	v_add_f64 v[34:35], v[26:27], v[18:19]
	v_fma_f64 v[38:39], v[38:39], s[18:19], v[14:15]
	v_fma_f64 v[36:37], v[36:37], s[18:19], v[12:13]
	v_add_f64 v[20:21], v[20:21], v[16:17]
	v_add_f64 v[56:57], v[8:9], v[16:17]
	;; [unrolled: 1-line block ×3, first 2 shown]
	v_add_f64 v[18:19], v[24:25], -v[30:31]
	v_add_f64 v[22:23], v[30:31], v[24:25]
	v_add_f64 v[24:25], v[32:33], v[38:39]
	v_add_f64 v[26:27], v[34:35], -v[36:37]
	v_add_f64 v[16:17], v[20:21], v[28:29]
	v_add_f64 v[8:9], v[56:57], -v[46:47]
	v_add_f64 v[10:11], v[54:55], v[58:59]
	v_add_f64 v[12:13], v[56:57], v[46:47]
	v_add_f64 v[14:15], v[58:59], -v[54:55]
	v_add_f64 v[20:21], v[20:21], -v[28:29]
	;; [unrolled: 1-line block ×3, first 2 shown]
	v_add_f64 v[30:31], v[36:37], v[34:35]
	v_mad_u32_u24 v32, v60, s12, v3
	s_barrier
	ds_write_b128 v32, v[4:7]
	ds_write_b128 v32, v[24:27] offset:448
	ds_write_b128 v32, v[16:19] offset:896
	;; [unrolled: 1-line block ×6, first 2 shown]
	v_mul_lo_u16_e32 v4, 37, v60
	v_mov_b32_e32 v5, 7
	v_mul_lo_u16_sdwa v4, v4, v5 dst_sel:DWORD dst_unused:UNUSED_PAD src0_sel:BYTE_1 src1_sel:DWORD
	v_sub_u16_e32 v54, v60, v4
	v_mov_b32_e32 v4, 6
	v_mul_u32_u24_sdwa v4, v54, v4 dst_sel:DWORD dst_unused:UNUSED_PAD src0_sel:BYTE_0 src1_sel:DWORD
	v_lshlrev_b32_e32 v28, 4, v4
	s_waitcnt lgkmcnt(0)
	s_barrier
	global_load_dwordx4 v[4:7], v28, s[8:9]
	global_load_dwordx4 v[8:11], v28, s[8:9] offset:16
	global_load_dwordx4 v[12:15], v28, s[8:9] offset:80
	;; [unrolled: 1-line block ×5, first 2 shown]
	ds_read_b128 v[28:31], v3 offset:3136
	ds_read_b128 v[32:35], v3
	ds_read_b128 v[36:39], v3 offset:6272
	ds_read_b128 v[40:43], v3 offset:9408
	;; [unrolled: 1-line block ×3, first 2 shown]
	s_mul_i32 s12, s34, s6
	s_waitcnt vmcnt(5) lgkmcnt(4)
	v_mul_f64 v[48:49], v[30:31], v[6:7]
	v_mul_f64 v[6:7], v[28:29], v[6:7]
	s_waitcnt vmcnt(4) lgkmcnt(2)
	v_mul_f64 v[50:51], v[38:39], v[10:11]
	v_mul_f64 v[10:11], v[36:37], v[10:11]
	v_fma_f64 v[28:29], v[28:29], v[4:5], v[48:49]
	v_fma_f64 v[30:31], v[30:31], v[4:5], -v[6:7]
	ds_read_b128 v[4:7], v3 offset:15680
	s_waitcnt vmcnt(3) lgkmcnt(1)
	v_mul_f64 v[48:49], v[46:47], v[14:15]
	v_mul_f64 v[14:15], v[44:45], v[14:15]
	v_fma_f64 v[36:37], v[36:37], v[8:9], v[50:51]
	v_fma_f64 v[38:39], v[38:39], v[8:9], -v[10:11]
	ds_read_b128 v[8:11], v3 offset:12544
	s_waitcnt vmcnt(1) lgkmcnt(1)
	v_mul_f64 v[52:53], v[6:7], v[22:23]
	v_mul_f64 v[22:23], v[4:5], v[22:23]
	;; [unrolled: 1-line block ×3, first 2 shown]
	v_fma_f64 v[44:45], v[44:45], v[12:13], v[48:49]
	v_fma_f64 v[12:13], v[46:47], v[12:13], -v[14:15]
	v_mul_f64 v[14:15], v[40:41], v[18:19]
	s_waitcnt vmcnt(0) lgkmcnt(0)
	v_mul_f64 v[18:19], v[10:11], v[26:27]
	v_mul_f64 v[26:27], v[8:9], v[26:27]
	v_fma_f64 v[46:47], v[4:5], v[20:21], v[52:53]
	v_fma_f64 v[20:21], v[6:7], v[20:21], -v[22:23]
	v_fma_f64 v[22:23], v[40:41], v[16:17], v[50:51]
	v_fma_f64 v[14:15], v[42:43], v[16:17], -v[14:15]
	;; [unrolled: 2-line block ×3, first 2 shown]
	v_add_f64 v[16:17], v[28:29], v[44:45]
	v_add_f64 v[18:19], v[36:37], v[46:47]
	;; [unrolled: 1-line block ×4, first 2 shown]
	v_add_f64 v[20:21], v[38:39], -v[20:21]
	v_add_f64 v[40:41], v[22:23], v[7:8]
	v_add_f64 v[42:43], v[14:15], v[9:10]
	v_add_f64 v[9:10], v[9:10], -v[14:15]
	v_add_f64 v[3:4], v[18:19], v[16:17]
	v_add_f64 v[7:8], v[7:8], -v[22:23]
	;; [unrolled: 2-line block ×3, first 2 shown]
	v_add_f64 v[48:49], v[40:41], v[3:4]
	v_addc_co_u32_e64 v3, s[8:9], 0, 0, vcc
	v_add_f64 v[50:51], v[42:43], v[5:6]
	v_mul_lo_u32 v3, v3, s4
	v_mul_lo_u32 v4, v1, s5
	v_mad_u64_u32 v[52:53], s[4:5], v1, s4, 0
	v_mov_b32_e32 v1, 49
	s_lshl_b64 s[4:5], s[10:11], 4
	v_mul_lo_u16_sdwa v0, v0, v1 dst_sel:DWORD dst_unused:UNUSED_PAD src0_sel:WORD_1 src1_sel:DWORD
	s_add_u32 s4, s2, s4
	v_add_u32_sdwa v0, v54, v0 dst_sel:DWORD dst_unused:UNUSED_PAD src0_sel:BYTE_0 src1_sel:DWORD
	v_add3_u32 v53, v53, v4, v3
	v_add_f64 v[3:4], v[32:33], v[48:49]
	v_add_f64 v[5:6], v[34:35], v[50:51]
	s_addc_u32 s5, s3, s5
	s_lshl_b64 s[2:3], s[12:13], 4
	v_mul_lo_u32 v1, v0, s7
	s_add_u32 s2, s4, s2
	v_lshlrev_b64 v[32:33], 4, v[52:53]
	s_addc_u32 s3, s5, s3
	v_mov_b32_e32 v11, s3
	v_add_co_u32_e32 v54, vcc, s2, v32
	v_addc_co_u32_e32 v55, vcc, v11, v33, vcc
	v_lshlrev_b64 v[32:33], 4, v[1:2]
	v_fma_f64 v[34:35], v[50:51], s[20:21], v[5:6]
	v_add_co_u32_e32 v32, vcc, v54, v32
	v_addc_co_u32_e32 v33, vcc, v55, v33, vcc
	global_store_dwordx4 v[32:33], v[3:6], off
	v_fma_f64 v[32:33], v[48:49], s[20:21], v[3:4]
	v_add_f64 v[5:6], v[36:37], -v[46:47]
	v_add_f64 v[3:4], v[28:29], -v[44:45]
	v_add_f64 v[11:12], v[30:31], -v[12:13]
	v_add_f64 v[13:14], v[16:17], -v[40:41]
	v_add_f64 v[28:29], v[24:25], -v[42:43]
	v_add_f64 v[30:31], v[42:43], -v[26:27]
	v_add_f64 v[36:37], v[9:10], -v[20:21]
	v_add_f64 v[42:43], v[9:10], v[20:21]
	v_add_f64 v[38:39], v[7:8], -v[5:6]
	s_mul_i32 s7, s7, 7
	v_add_f64 v[40:41], v[7:8], v[5:6]
	v_add_f64 v[7:8], v[3:4], -v[7:8]
	v_mul_f64 v[13:14], v[13:14], s[30:31]
	v_add_f64 v[9:10], v[11:12], -v[9:10]
	v_mul_f64 v[28:29], v[28:29], s[30:31]
	v_mul_f64 v[36:37], v[36:37], s[22:23]
	;; [unrolled: 1-line block ×3, first 2 shown]
	v_add_u32_e32 v1, s7, v1
	v_add_f64 v[42:43], v[42:43], v[11:12]
	v_add_f64 v[11:12], v[20:21], -v[11:12]
	v_lshlrev_b64 v[44:45], 4, v[1:2]
	v_add_f64 v[40:41], v[40:41], v[3:4]
	v_add_co_u32_e32 v20, vcc, v54, v44
	v_addc_co_u32_e32 v21, vcc, v55, v45, vcc
	v_add_f64 v[44:45], v[5:6], -v[3:4]
	v_fma_f64 v[46:47], v[22:23], s[0:1], v[13:14]
	v_fma_f64 v[48:49], v[30:31], s[0:1], v[28:29]
	;; [unrolled: 1-line block ×4, first 2 shown]
	v_mul_f64 v[5:6], v[11:12], s[14:15]
	v_add_f64 v[15:16], v[18:19], -v[16:17]
	v_add_f64 v[24:25], v[26:27], -v[24:25]
	v_mul_f64 v[26:27], v[44:45], s[14:15]
	v_add_f64 v[46:47], v[46:47], v[32:33]
	v_add_f64 v[48:49], v[48:49], v[34:35]
	v_fma_f64 v[50:51], v[42:43], s[18:19], v[50:51]
	v_fma_f64 v[17:18], v[40:41], s[18:19], v[52:53]
	v_mul_f64 v[22:23], v[22:23], s[0:1]
	v_mul_f64 v[30:31], v[30:31], s[0:1]
	v_fma_f64 v[9:10], v[9:10], s[26:27], -v[5:6]
	v_fma_f64 v[13:14], v[15:16], s[24:25], -v[13:14]
	;; [unrolled: 1-line block ×4, first 2 shown]
	v_add_f64 v[3:4], v[50:51], v[46:47]
	v_add_f64 v[5:6], v[48:49], -v[17:18]
	v_fma_f64 v[15:16], v[15:16], s[16:17], -v[22:23]
	v_fma_f64 v[22:23], v[24:25], s[16:17], -v[30:31]
	;; [unrolled: 1-line block ×3, first 2 shown]
	v_fma_f64 v[24:25], v[42:43], s[18:19], v[9:10]
	v_fma_f64 v[9:10], v[44:45], s[14:15], -v[38:39]
	v_add_f64 v[13:14], v[13:14], v[32:33]
	v_add_f64 v[26:27], v[28:29], v[34:35]
	v_fma_f64 v[28:29], v[40:41], s[18:19], v[7:8]
	global_store_dwordx4 v[20:21], v[3:6], off
	v_add_f64 v[15:16], v[15:16], v[32:33]
	v_add_f64 v[19:20], v[22:23], v[34:35]
	v_fma_f64 v[11:12], v[42:43], s[18:19], v[11:12]
	v_fma_f64 v[21:22], v[40:41], s[18:19], v[9:10]
	v_add_u32_e32 v1, s7, v1
	v_add_f64 v[3:4], v[24:25], v[13:14]
	v_add_f64 v[5:6], v[26:27], -v[28:29]
	v_lshlrev_b64 v[7:8], 4, v[1:2]
	v_add_u32_e32 v1, s7, v1
	v_add_co_u32_e32 v30, vcc, v54, v7
	v_addc_co_u32_e32 v31, vcc, v55, v8, vcc
	v_add_f64 v[7:8], v[15:16], -v[11:12]
	v_add_f64 v[9:10], v[21:22], v[19:20]
	global_store_dwordx4 v[30:31], v[3:6], off
	s_nop 0
	v_lshlrev_b64 v[3:4], 4, v[1:2]
	v_add_f64 v[5:6], v[19:20], -v[21:22]
	v_add_co_u32_e32 v3, vcc, v54, v3
	v_addc_co_u32_e32 v4, vcc, v55, v4, vcc
	global_store_dwordx4 v[3:4], v[7:10], off
	v_add_f64 v[3:4], v[11:12], v[15:16]
	v_add_u32_e32 v1, s7, v1
	v_lshlrev_b64 v[15:16], 4, v[1:2]
	v_add_f64 v[7:8], v[13:14], -v[24:25]
	v_add_f64 v[9:10], v[28:29], v[26:27]
	v_add_f64 v[11:12], v[46:47], -v[50:51]
	v_add_f64 v[13:14], v[17:18], v[48:49]
	v_add_co_u32_e32 v15, vcc, v54, v15
	v_addc_co_u32_e32 v16, vcc, v55, v16, vcc
	v_add_u32_e32 v1, s7, v1
	global_store_dwordx4 v[15:16], v[3:6], off
	s_nop 0
	v_lshlrev_b64 v[3:4], 4, v[1:2]
	v_add_u32_e32 v1, s7, v1
	v_add_co_u32_e32 v3, vcc, v54, v3
	v_lshlrev_b64 v[0:1], 4, v[1:2]
	v_addc_co_u32_e32 v4, vcc, v55, v4, vcc
	v_add_co_u32_e32 v0, vcc, v54, v0
	v_addc_co_u32_e32 v1, vcc, v55, v1, vcc
	global_store_dwordx4 v[3:4], v[7:10], off
	global_store_dwordx4 v[0:1], v[11:14], off
	s_endpgm
	.section	.rodata,"a",@progbits
	.p2align	6, 0x0
	.amdhsa_kernel fft_rtc_back_len49_factors_7_7_wgs_196_tpt_7_dp_op_CI_CI_sbrc_z_xy_diag_dirReg
		.amdhsa_group_segment_fixed_size 0
		.amdhsa_private_segment_fixed_size 0
		.amdhsa_kernarg_size 104
		.amdhsa_user_sgpr_count 6
		.amdhsa_user_sgpr_private_segment_buffer 1
		.amdhsa_user_sgpr_dispatch_ptr 0
		.amdhsa_user_sgpr_queue_ptr 0
		.amdhsa_user_sgpr_kernarg_segment_ptr 1
		.amdhsa_user_sgpr_dispatch_id 0
		.amdhsa_user_sgpr_flat_scratch_init 0
		.amdhsa_user_sgpr_private_segment_size 0
		.amdhsa_uses_dynamic_stack 0
		.amdhsa_system_sgpr_private_segment_wavefront_offset 0
		.amdhsa_system_sgpr_workgroup_id_x 1
		.amdhsa_system_sgpr_workgroup_id_y 0
		.amdhsa_system_sgpr_workgroup_id_z 0
		.amdhsa_system_sgpr_workgroup_info 0
		.amdhsa_system_vgpr_workitem_id 0
		.amdhsa_next_free_vgpr 61
		.amdhsa_next_free_sgpr 36
		.amdhsa_reserve_vcc 1
		.amdhsa_reserve_flat_scratch 0
		.amdhsa_float_round_mode_32 0
		.amdhsa_float_round_mode_16_64 0
		.amdhsa_float_denorm_mode_32 3
		.amdhsa_float_denorm_mode_16_64 3
		.amdhsa_dx10_clamp 1
		.amdhsa_ieee_mode 1
		.amdhsa_fp16_overflow 0
		.amdhsa_exception_fp_ieee_invalid_op 0
		.amdhsa_exception_fp_denorm_src 0
		.amdhsa_exception_fp_ieee_div_zero 0
		.amdhsa_exception_fp_ieee_overflow 0
		.amdhsa_exception_fp_ieee_underflow 0
		.amdhsa_exception_fp_ieee_inexact 0
		.amdhsa_exception_int_div_zero 0
	.end_amdhsa_kernel
	.text
.Lfunc_end0:
	.size	fft_rtc_back_len49_factors_7_7_wgs_196_tpt_7_dp_op_CI_CI_sbrc_z_xy_diag_dirReg, .Lfunc_end0-fft_rtc_back_len49_factors_7_7_wgs_196_tpt_7_dp_op_CI_CI_sbrc_z_xy_diag_dirReg
                                        ; -- End function
	.section	.AMDGPU.csdata,"",@progbits
; Kernel info:
; codeLenInByte = 3076
; NumSgprs: 40
; NumVgprs: 61
; ScratchSize: 0
; MemoryBound: 0
; FloatMode: 240
; IeeeMode: 1
; LDSByteSize: 0 bytes/workgroup (compile time only)
; SGPRBlocks: 4
; VGPRBlocks: 15
; NumSGPRsForWavesPerEU: 40
; NumVGPRsForWavesPerEU: 61
; Occupancy: 4
; WaveLimiterHint : 1
; COMPUTE_PGM_RSRC2:SCRATCH_EN: 0
; COMPUTE_PGM_RSRC2:USER_SGPR: 6
; COMPUTE_PGM_RSRC2:TRAP_HANDLER: 0
; COMPUTE_PGM_RSRC2:TGID_X_EN: 1
; COMPUTE_PGM_RSRC2:TGID_Y_EN: 0
; COMPUTE_PGM_RSRC2:TGID_Z_EN: 0
; COMPUTE_PGM_RSRC2:TIDIG_COMP_CNT: 0
	.type	__hip_cuid_e9e389197885041d,@object ; @__hip_cuid_e9e389197885041d
	.section	.bss,"aw",@nobits
	.globl	__hip_cuid_e9e389197885041d
__hip_cuid_e9e389197885041d:
	.byte	0                               ; 0x0
	.size	__hip_cuid_e9e389197885041d, 1

	.ident	"AMD clang version 19.0.0git (https://github.com/RadeonOpenCompute/llvm-project roc-6.4.0 25133 c7fe45cf4b819c5991fe208aaa96edf142730f1d)"
	.section	".note.GNU-stack","",@progbits
	.addrsig
	.addrsig_sym __hip_cuid_e9e389197885041d
	.amdgpu_metadata
---
amdhsa.kernels:
  - .args:
      - .actual_access:  read_only
        .address_space:  global
        .offset:         0
        .size:           8
        .value_kind:     global_buffer
      - .offset:         8
        .size:           8
        .value_kind:     by_value
      - .actual_access:  read_only
        .address_space:  global
        .offset:         16
        .size:           8
        .value_kind:     global_buffer
      - .actual_access:  read_only
        .address_space:  global
        .offset:         24
        .size:           8
        .value_kind:     global_buffer
      - .actual_access:  read_only
        .address_space:  global
        .offset:         32
        .size:           8
        .value_kind:     global_buffer
      - .offset:         40
        .size:           8
        .value_kind:     by_value
      - .actual_access:  read_only
        .address_space:  global
        .offset:         48
        .size:           8
        .value_kind:     global_buffer
      - .actual_access:  read_only
        .address_space:  global
        .offset:         56
        .size:           8
        .value_kind:     global_buffer
      - .offset:         64
        .size:           4
        .value_kind:     by_value
      - .actual_access:  read_only
        .address_space:  global
        .offset:         72
        .size:           8
        .value_kind:     global_buffer
      - .actual_access:  read_only
        .address_space:  global
        .offset:         80
        .size:           8
        .value_kind:     global_buffer
      - .actual_access:  read_only
        .address_space:  global
        .offset:         88
        .size:           8
        .value_kind:     global_buffer
      - .actual_access:  write_only
        .address_space:  global
        .offset:         96
        .size:           8
        .value_kind:     global_buffer
    .group_segment_fixed_size: 0
    .kernarg_segment_align: 8
    .kernarg_segment_size: 104
    .language:       OpenCL C
    .language_version:
      - 2
      - 0
    .max_flat_workgroup_size: 196
    .name:           fft_rtc_back_len49_factors_7_7_wgs_196_tpt_7_dp_op_CI_CI_sbrc_z_xy_diag_dirReg
    .private_segment_fixed_size: 0
    .sgpr_count:     40
    .sgpr_spill_count: 0
    .symbol:         fft_rtc_back_len49_factors_7_7_wgs_196_tpt_7_dp_op_CI_CI_sbrc_z_xy_diag_dirReg.kd
    .uniform_work_group_size: 1
    .uses_dynamic_stack: false
    .vgpr_count:     61
    .vgpr_spill_count: 0
    .wavefront_size: 64
amdhsa.target:   amdgcn-amd-amdhsa--gfx906
amdhsa.version:
  - 1
  - 2
...

	.end_amdgpu_metadata
